;; amdgpu-corpus repo=ROCm/rocFFT kind=compiled arch=gfx950 opt=O3
	.text
	.amdgcn_target "amdgcn-amd-amdhsa--gfx950"
	.amdhsa_code_object_version 6
	.protected	fft_rtc_back_len168_factors_2_3_4_7_wgs_140_tpt_14_dim2_sp_ip_CI_sbcc_twdbase8_2step_dirReg_intrinsicReadWrite ; -- Begin function fft_rtc_back_len168_factors_2_3_4_7_wgs_140_tpt_14_dim2_sp_ip_CI_sbcc_twdbase8_2step_dirReg_intrinsicReadWrite
	.globl	fft_rtc_back_len168_factors_2_3_4_7_wgs_140_tpt_14_dim2_sp_ip_CI_sbcc_twdbase8_2step_dirReg_intrinsicReadWrite
	.p2align	8
	.type	fft_rtc_back_len168_factors_2_3_4_7_wgs_140_tpt_14_dim2_sp_ip_CI_sbcc_twdbase8_2step_dirReg_intrinsicReadWrite,@function
fft_rtc_back_len168_factors_2_3_4_7_wgs_140_tpt_14_dim2_sp_ip_CI_sbcc_twdbase8_2step_dirReg_intrinsicReadWrite: ; @fft_rtc_back_len168_factors_2_3_4_7_wgs_140_tpt_14_dim2_sp_ip_CI_sbcc_twdbase8_2step_dirReg_intrinsicReadWrite
; %bb.0:
	s_load_dwordx4 s[4:7], s[0:1], 0x10
	s_mov_b32 s3, 0
	s_waitcnt lgkmcnt(0)
	s_load_dwordx2 s[12:13], s[4:5], 0x8
	s_load_dwordx2 s[8:9], s[0:1], 0x50
	;; [unrolled: 1-line block ×3, first 2 shown]
	s_waitcnt lgkmcnt(0)
	s_add_u32 s4, s12, -1
	s_addc_u32 s5, s13, -1
	s_add_u32 s11, 0, 0x99986000
	s_addc_u32 s14, 0, 0x59
	s_mul_hi_u32 s16, s11, -10
	s_add_i32 s14, s14, 0x19999940
	s_sub_i32 s16, s16, s11
	s_mul_i32 s19, s14, -10
	s_mul_i32 s15, s11, -10
	s_add_i32 s16, s16, s19
	s_mul_hi_u32 s17, s14, s15
	s_mul_i32 s18, s14, s15
	s_mul_i32 s20, s11, s16
	s_mul_hi_u32 s15, s11, s15
	s_mul_hi_u32 s19, s11, s16
	s_add_u32 s15, s15, s20
	s_addc_u32 s19, 0, s19
	s_add_u32 s15, s15, s18
	s_mul_hi_u32 s20, s14, s16
	s_addc_u32 s15, s19, s17
	s_addc_u32 s17, s20, 0
	s_mul_i32 s16, s14, s16
	s_add_u32 s15, s15, s16
	v_mov_b32_e32 v1, s15
	s_addc_u32 s16, 0, s17
	v_add_co_u32_e32 v1, vcc, s11, v1
	s_cmp_lg_u64 vcc, 0
	s_addc_u32 s11, s14, s16
	v_readfirstlane_b32 s16, v1
	s_mul_i32 s15, s4, s11
	s_mul_hi_u32 s17, s4, s16
	s_mul_hi_u32 s14, s4, s11
	s_add_u32 s15, s17, s15
	s_addc_u32 s14, 0, s14
	s_mul_hi_u32 s18, s5, s16
	s_mul_i32 s16, s5, s16
	s_add_u32 s15, s15, s16
	s_mul_hi_u32 s17, s5, s11
	s_addc_u32 s14, s14, s18
	s_addc_u32 s15, s17, 0
	s_mul_i32 s11, s5, s11
	s_add_u32 s11, s14, s11
	s_addc_u32 s14, 0, s15
	s_add_u32 s15, s11, 1
	s_addc_u32 s16, s14, 0
	s_add_u32 s17, s11, 2
	s_mul_i32 s19, s14, 10
	s_mul_hi_u32 s20, s11, 10
	s_addc_u32 s18, s14, 0
	s_add_i32 s20, s20, s19
	s_mul_i32 s19, s11, 10
	v_mov_b32_e32 v1, s19
	v_sub_co_u32_e32 v1, vcc, s4, v1
	s_cmp_lg_u64 vcc, 0
	s_subb_u32 s4, s5, s20
	v_subrev_co_u32_e32 v2, vcc, 10, v1
	s_cmp_lg_u64 vcc, 0
	s_subb_u32 s5, s4, 0
	v_readfirstlane_b32 s19, v2
	s_cmp_gt_u32 s19, 9
	s_cselect_b32 s19, -1, 0
	s_cmp_eq_u32 s5, 0
	s_cselect_b32 s5, s19, -1
	s_cmp_lg_u32 s5, 0
	s_cselect_b32 s5, s17, s15
	s_cselect_b32 s15, s18, s16
	v_readfirstlane_b32 s16, v1
	s_cmp_gt_u32 s16, 9
	s_cselect_b32 s16, -1, 0
	s_cmp_eq_u32 s4, 0
	s_cselect_b32 s4, s16, -1
	s_cmp_lg_u32 s4, 0
	s_cselect_b32 s4, s5, s11
	s_cselect_b32 s14, s15, s14
	s_add_u32 s4, s4, 1
	s_addc_u32 s5, s14, 0
	v_mov_b64_e32 v[2:3], s[4:5]
	v_cmp_lt_u64_e32 vcc, s[2:3], v[2:3]
	s_mov_b64 s[14:15], 0
	s_cbranch_vccnz .LBB0_2
; %bb.1:
	v_cvt_f32_u32_e32 v1, s4
	s_sub_i32 s3, 0, s4
	v_rcp_iflag_f32_e32 v1, v1
	s_nop 0
	v_mul_f32_e32 v1, 0x4f7ffffe, v1
	v_cvt_u32_f32_e32 v1, v1
	s_nop 0
	v_readfirstlane_b32 s11, v1
	s_mul_i32 s3, s3, s11
	s_mul_hi_u32 s3, s11, s3
	s_add_i32 s11, s11, s3
	s_mul_hi_u32 s3, s2, s11
	s_mul_i32 s14, s3, s4
	s_sub_i32 s14, s2, s14
	s_add_i32 s11, s3, 1
	s_sub_i32 s15, s14, s4
	s_cmp_ge_u32 s14, s4
	s_cselect_b32 s3, s11, s3
	s_cselect_b32 s14, s15, s14
	s_add_i32 s11, s3, 1
	s_cmp_ge_u32 s14, s4
	s_cselect_b32 s14, s11, s3
.LBB0_2:
	s_mul_i32 s3, s14, s5
	s_mul_hi_u32 s5, s14, s4
	s_add_i32 s5, s5, s3
	s_mul_i32 s3, s14, s4
	s_sub_u32 s2, s2, s3
	s_subb_u32 s3, 0, s5
	s_load_dwordx4 s[4:7], s[6:7], 0x8
	v_mul_u32_u24_e32 v1, 0x199a, v0
	v_lshrrev_b32_e32 v36, 16, v1
	s_waitcnt lgkmcnt(0)
	s_mul_i32 s5, s3, 10
	s_mul_hi_u32 s3, s2, 10
	s_mul_i32 s15, s2, 10
	v_mul_lo_u16_e32 v1, 10, v36
	s_add_i32 s7, s3, s5
	s_mul_i32 s3, s15, s4
	s_mul_i32 s6, s6, s14
	v_sub_u16_e32 v2, v0, v1
	v_mov_b32_e32 v3, 0
	s_add_u32 s11, s6, s3
	v_mad_u64_u32 v[46:47], s[2:3], s2, 10, v[2:3]
	s_add_u32 s2, s15, 10
	s_addc_u32 s3, s7, 0
	v_mov_b64_e32 v[4:5], s[12:13]
	v_add_u32_e32 v47, s5, v47
	v_cmp_le_u64_e32 vcc, s[2:3], v[4:5]
	v_mad_u64_u32 v[34:35], s[2:3], s4, v2, 0
	v_cmp_gt_u64_e64 s[2:3], s[12:13], v[46:47]
	s_or_b64 s[6:7], vcc, s[2:3]
	v_mov_b32_e32 v4, 0
	v_mov_b32_e32 v5, 0
	s_and_saveexec_b64 s[4:5], s[6:7]
	s_cbranch_execz .LBB0_4
; %bb.3:
	v_mul_lo_u32 v1, s10, v36
	v_add3_u32 v4, s11, v34, v1
	v_mov_b32_e32 v5, v3
	v_lshl_add_u64 v[4:5], v[4:5], 3, s[8:9]
	global_load_dwordx2 v[4:5], v[4:5], off
.LBB0_4:
	s_or_b64 exec, exec, s[4:5]
	v_mov_b32_e32 v7, 0
	s_and_saveexec_b64 s[4:5], s[6:7]
	s_cbranch_execz .LBB0_6
; %bb.5:
	v_add_u32_e32 v1, 0x54, v36
	v_mul_lo_u32 v1, s10, v1
	v_add3_u32 v6, s11, v34, v1
	v_mov_b32_e32 v7, 0
	v_lshl_add_u64 v[6:7], v[6:7], 3, s[8:9]
	global_load_dwordx2 v[6:7], v[6:7], off
	s_waitcnt vmcnt(0)
	v_mov_b32_e32 v3, v6
.LBB0_6:
	s_or_b64 exec, exec, s[4:5]
	v_add_u32_e32 v1, 14, v36
	v_mov_b32_e32 v10, 0
	v_mov_b32_e32 v8, 0
	v_mov_b32_e32 v9, 0
	s_and_saveexec_b64 s[4:5], s[6:7]
	s_cbranch_execz .LBB0_8
; %bb.7:
	v_mul_lo_u32 v6, s10, v1
	v_add3_u32 v8, s11, v34, v6
	v_mov_b32_e32 v9, 0
	v_lshl_add_u64 v[8:9], v[8:9], 3, s[8:9]
	global_load_dwordx2 v[8:9], v[8:9], off
.LBB0_8:
	s_or_b64 exec, exec, s[4:5]
	v_mov_b32_e32 v11, 0
	s_and_saveexec_b64 s[4:5], s[6:7]
	s_cbranch_execz .LBB0_10
; %bb.9:
	v_add_u32_e32 v6, 0x62, v36
	v_mul_lo_u32 v6, s10, v6
	v_add3_u32 v10, s11, v34, v6
	v_mov_b32_e32 v11, 0
	v_lshl_add_u64 v[10:11], v[10:11], 3, s[8:9]
	global_load_dwordx2 v[10:11], v[10:11], off
.LBB0_10:
	s_or_b64 exec, exec, s[4:5]
	v_add_u32_e32 v28, 28, v36
	v_mov_b32_e32 v14, 0
	v_mov_b32_e32 v12, 0
	v_mov_b32_e32 v13, 0
	s_and_saveexec_b64 s[4:5], s[6:7]
	s_cbranch_execz .LBB0_12
; %bb.11:
	v_mul_lo_u32 v6, s10, v28
	v_add3_u32 v12, s11, v34, v6
	v_mov_b32_e32 v13, 0
	v_lshl_add_u64 v[12:13], v[12:13], 3, s[8:9]
	global_load_dwordx2 v[12:13], v[12:13], off
.LBB0_12:
	s_or_b64 exec, exec, s[4:5]
	v_mov_b32_e32 v15, 0
	s_and_saveexec_b64 s[4:5], s[6:7]
	s_cbranch_execz .LBB0_14
; %bb.13:
	v_add_u32_e32 v6, 0x70, v36
	v_mul_lo_u32 v6, s10, v6
	v_add3_u32 v14, s11, v34, v6
	v_mov_b32_e32 v15, 0
	v_lshl_add_u64 v[14:15], v[14:15], 3, s[8:9]
	global_load_dwordx2 v[14:15], v[14:15], off
.LBB0_14:
	;; [unrolled: 26-line block ×4, first 2 shown]
	s_or_b64 exec, exec, s[4:5]
	s_load_dwordx2 s[12:13], s[0:1], 0x0
	v_mov_b32_e32 v26, 0
	v_mov_b32_e32 v24, 0
	;; [unrolled: 1-line block ×3, first 2 shown]
	s_and_saveexec_b64 s[4:5], s[6:7]
	s_cbranch_execz .LBB0_24
; %bb.23:
	v_add_u32_e32 v6, 0x46, v36
	v_mul_lo_u32 v6, s10, v6
	v_add3_u32 v24, s11, v34, v6
	v_mov_b32_e32 v25, 0
	v_lshl_add_u64 v[24:25], v[24:25], 3, s[8:9]
	global_load_dwordx2 v[24:25], v[24:25], off
.LBB0_24:
	s_or_b64 exec, exec, s[4:5]
	v_mov_b32_e32 v27, 0
	s_and_saveexec_b64 s[4:5], s[6:7]
	s_cbranch_execz .LBB0_26
; %bb.25:
	v_add_u32_e32 v6, 0x9a, v36
	v_mul_lo_u32 v6, s10, v6
	v_add3_u32 v26, s11, v34, v6
	v_mov_b32_e32 v27, 0
	v_lshl_add_u64 v[26:27], v[26:27], 3, s[8:9]
	global_load_dwordx2 v[26:27], v[26:27], off
.LBB0_26:
	s_or_b64 exec, exec, s[4:5]
	v_mov_b32_e32 v6, v3
	s_waitcnt vmcnt(0)
	v_pk_add_f32 v[6:7], v[4:5], v[6:7] neg_lo:[0,1] neg_hi:[0,1]
	v_mul_u32_u24_e32 v3, 0xa0, v36
	v_lshlrev_b32_e32 v35, 3, v2
	v_pk_add_f32 v[10:11], v[8:9], v[10:11] neg_lo:[0,1] neg_hi:[0,1]
	v_add3_u32 v31, 0, v3, v35
	v_pk_fma_f32 v[2:3], v[4:5], 2.0, v[6:7] op_sel_hi:[1,0,1] neg_lo:[0,0,1] neg_hi:[0,0,1]
	v_pk_add_f32 v[14:15], v[12:13], v[14:15] neg_lo:[0,1] neg_hi:[0,1]
	ds_write2_b64 v31, v[2:3], v[6:7] offset1:10
	v_pk_fma_f32 v[2:3], v[8:9], 2.0, v[10:11] op_sel_hi:[1,0,1] neg_lo:[0,0,1] neg_hi:[0,0,1]
	v_add_u32_e32 v4, 0x800, v31
	v_pk_add_f32 v[18:19], v[16:17], v[18:19] neg_lo:[0,1] neg_hi:[0,1]
	ds_write2_b64 v4, v[2:3], v[10:11] offset0:24 offset1:34
	v_pk_fma_f32 v[2:3], v[12:13], 2.0, v[14:15] op_sel_hi:[1,0,1] neg_lo:[0,0,1] neg_hi:[0,0,1]
	v_add_u32_e32 v4, 0x1000, v31
	v_pk_add_f32 v[22:23], v[20:21], v[22:23] neg_lo:[0,1] neg_hi:[0,1]
	ds_write2_b64 v4, v[2:3], v[14:15] offset0:48 offset1:58
	;; [unrolled: 4-line block ×3, first 2 shown]
	v_pk_fma_f32 v[2:3], v[20:21], 2.0, v[22:23] op_sel_hi:[1,0,1] neg_lo:[0,0,1] neg_hi:[0,0,1]
	v_add_u32_e32 v4, 0x2000, v31
	ds_write2_b64 v4, v[2:3], v[22:23] offset0:96 offset1:106
	v_pk_fma_f32 v[2:3], v[24:25], 2.0, v[26:27] op_sel_hi:[1,0,1] neg_lo:[0,0,1] neg_hi:[0,0,1]
	v_add_u32_e32 v4, 0x2800, v31
	v_and_b32_e32 v8, 1, v36
	ds_write2_b64 v4, v[2:3], v[26:27] offset0:120 offset1:130
	v_lshlrev_b32_e32 v2, 4, v8
	s_waitcnt lgkmcnt(0)
	s_barrier
	global_load_dwordx4 v[2:5], v2, s[12:13]
	s_movk_i32 s4, 0xffb0
	v_mul_i32_i24_e32 v7, 0xffffffb0, v30
	s_movk_i32 s5, 0x2300
	v_lshrrev_b32_e32 v6, 1, v36
	v_lshrrev_b32_e32 v12, 1, v1
	;; [unrolled: 1-line block ×4, first 2 shown]
	v_mul_i32_i24_e32 v9, 0xffffffb0, v1
	s_movk_i32 s14, 0x8c0
	v_mul_i32_i24_e32 v10, 0xffffffb0, v28
	s_movk_i32 s15, 0x1180
	;; [unrolled: 2-line block ×3, first 2 shown]
	v_mul_u32_u24_e32 v15, 6, v6
	v_mul_u32_u24_e32 v12, 6, v12
	;; [unrolled: 1-line block ×4, first 2 shown]
	v_mad_i32_i24 v6, v36, s4, v31
	v_add3_u32 v16, v31, s5, v7
	v_add3_u32 v7, v31, s14, v9
	v_add3_u32 v37, v31, s15, v10
	v_add3_u32 v47, v31, s16, v11
	v_or_b32_e32 v9, v15, v8
	v_or_b32_e32 v10, v12, v8
	;; [unrolled: 1-line block ×4, first 2 shown]
	ds_read_b64 v[20:21], v16
	v_add_u32_e32 v12, 0x1c00, v6
	v_add_u32_e32 v13, 0x1400, v6
	;; [unrolled: 1-line block ×3, first 2 shown]
	v_mul_u32_u24_e32 v26, 0x50, v9
	v_mul_u32_u24_e32 v27, 0x50, v10
	;; [unrolled: 1-line block ×4, first 2 shown]
	ds_read_b64 v[22:23], v47
	ds_read_b64 v[24:25], v37
	ds_read2_b64 v[8:11], v12 offset0:84 offset1:224
	ds_read2_b64 v[12:15], v13 offset0:60 offset1:200
	;; [unrolled: 1-line block ×3, first 2 shown]
	v_add3_u32 v50, 0, v26, v35
	v_add3_u32 v51, 0, v27, v35
	;; [unrolled: 1-line block ×3, first 2 shown]
	s_mov_b32 s4, 0x3f5db3d7
	v_add3_u32 v29, 0, v29, v35
	v_mul_lo_u16_e32 v54, 43, v36
                                        ; implicit-def: $vgpr56_vgpr57
	s_waitcnt vmcnt(0) lgkmcnt(2)
	v_pk_mul_f32 v[26:27], v[2:3], v[8:9] op_sel:[0,1]
	s_waitcnt lgkmcnt(0)
	v_pk_mul_f32 v[30:31], v[4:5], v[18:19] op_sel:[0,1]
	v_pk_fma_f32 v[38:39], v[2:3], v[8:9], v[26:27] op_sel:[0,0,1] op_sel_hi:[1,1,0]
	v_pk_fma_f32 v[8:9], v[2:3], v[8:9], v[26:27] op_sel:[0,0,1] op_sel_hi:[1,0,0] neg_lo:[1,0,0] neg_hi:[1,0,0]
	v_pk_fma_f32 v[26:27], v[4:5], v[18:19], v[30:31] op_sel:[0,0,1] op_sel_hi:[1,1,0]
	v_pk_fma_f32 v[18:19], v[4:5], v[18:19], v[30:31] op_sel:[0,0,1] op_sel_hi:[1,0,0] neg_lo:[1,0,0] neg_hi:[1,0,0]
	v_pk_mul_f32 v[32:33], v[2:3], v[14:15] op_sel:[0,1]
	v_mov_b32_e32 v27, v19
	ds_read_b64 v[18:19], v6 offset:12320
	v_pk_fma_f32 v[30:31], v[2:3], v[14:15], v[32:33] op_sel:[0,0,1] op_sel_hi:[1,1,0]
	v_pk_fma_f32 v[14:15], v[2:3], v[14:15], v[32:33] op_sel:[0,0,1] op_sel_hi:[1,0,0] neg_lo:[1,0,0] neg_hi:[1,0,0]
	ds_read_b64 v[32:33], v7
	ds_read_b64 v[40:41], v6
	v_mov_b32_e32 v14, v5
	v_mov_b32_e32 v31, v15
	s_waitcnt lgkmcnt(2)
	v_pk_mul_f32 v[14:15], v[18:19], v[14:15] op_sel_hi:[1,0]
	s_waitcnt lgkmcnt(0)
	v_pk_fma_f32 v[42:43], v[18:19], v[4:5], v[14:15] op_sel:[0,0,1] op_sel_hi:[1,1,0]
	v_pk_fma_f32 v[14:15], v[18:19], v[4:5], v[14:15] op_sel:[0,0,1] op_sel_hi:[1,0,0] neg_lo:[0,0,1] neg_hi:[0,0,1]
	v_pk_mul_f32 v[18:19], v[2:3], v[12:13] op_sel:[0,1]
	s_barrier
	v_pk_fma_f32 v[44:45], v[2:3], v[12:13], v[18:19] op_sel:[0,0,1] op_sel_hi:[1,1,0]
	v_pk_fma_f32 v[12:13], v[2:3], v[12:13], v[18:19] op_sel:[0,0,1] op_sel_hi:[1,0,0] neg_lo:[1,0,0] neg_hi:[1,0,0]
	v_pk_mul_f32 v[18:19], v[4:5], v[16:17] op_sel:[0,1]
	v_mov_b32_e32 v45, v13
	v_pk_fma_f32 v[48:49], v[4:5], v[16:17], v[18:19] op_sel:[0,0,1] op_sel_hi:[1,1,0]
	v_pk_fma_f32 v[16:17], v[4:5], v[16:17], v[18:19] op_sel:[0,0,1] op_sel_hi:[1,0,0] neg_lo:[1,0,0] neg_hi:[1,0,0]
	v_pk_add_f32 v[12:13], v[32:33], v[44:45]
	v_mov_b32_e32 v49, v17
	v_pk_add_f32 v[16:17], v[44:45], v[48:49]
	v_pk_add_f32 v[18:19], v[44:45], v[48:49] neg_lo:[0,1] neg_hi:[0,1]
	v_pk_fma_f32 v[16:17], v[16:17], 0.5, v[32:33] op_sel_hi:[1,0,1] neg_lo:[1,0,0] neg_hi:[1,0,0]
	v_pk_mul_f32 v[18:19], v[18:19], s[4:5] op_sel_hi:[1,0]
	v_pk_add_f32 v[12:13], v[12:13], v[48:49]
	v_pk_add_f32 v[32:33], v[16:17], v[18:19] op_sel:[0,1] op_sel_hi:[1,0] neg_lo:[0,1] neg_hi:[0,1]
	v_pk_add_f32 v[16:17], v[16:17], v[18:19] op_sel:[0,1] op_sel_hi:[1,0]
	v_pk_mul_f32 v[18:19], v[2:3], v[20:21] op_sel:[0,1]
	s_nop 0
	v_pk_fma_f32 v[44:45], v[2:3], v[20:21], v[18:19] op_sel:[0,0,1] op_sel_hi:[1,1,0]
	v_pk_fma_f32 v[2:3], v[2:3], v[20:21], v[18:19] op_sel:[0,0,1] op_sel_hi:[1,0,0] neg_lo:[1,0,0] neg_hi:[1,0,0]
	v_pk_mul_f32 v[18:19], v[4:5], v[10:11] op_sel:[0,1]
	v_mov_b32_e32 v45, v3
	v_pk_fma_f32 v[20:21], v[4:5], v[10:11], v[18:19] op_sel:[0,0,1] op_sel_hi:[1,1,0]
	v_pk_fma_f32 v[4:5], v[4:5], v[10:11], v[18:19] op_sel:[0,0,1] op_sel_hi:[1,0,0] neg_lo:[1,0,0] neg_hi:[1,0,0]
	v_pk_add_f32 v[2:3], v[40:41], v[44:45]
	v_mov_b32_e32 v21, v5
	v_pk_add_f32 v[4:5], v[44:45], v[20:21]
	v_pk_add_f32 v[10:11], v[44:45], v[20:21] neg_lo:[0,1] neg_hi:[0,1]
	v_pk_fma_f32 v[4:5], v[4:5], 0.5, v[40:41] op_sel_hi:[1,0,1] neg_lo:[1,0,0] neg_hi:[1,0,0]
	v_pk_mul_f32 v[10:11], v[10:11], s[4:5] op_sel_hi:[1,0]
	v_pk_add_f32 v[2:3], v[2:3], v[20:21]
	v_pk_add_f32 v[18:19], v[4:5], v[10:11] op_sel:[0,1] op_sel_hi:[1,0] neg_lo:[0,1] neg_hi:[0,1]
	v_pk_add_f32 v[4:5], v[4:5], v[10:11] op_sel:[0,1] op_sel_hi:[1,0]
	v_mov_b32_e32 v10, v18
	v_mov_b32_e32 v11, v5
	ds_write2_b64 v50, v[2:3], v[10:11] offset1:20
	v_mov_b32_e32 v5, v19
	v_mov_b32_e32 v2, v32
	;; [unrolled: 1-line block ×3, first 2 shown]
	ds_write_b64 v50, v[4:5] offset:320
	ds_write2_b64 v51, v[12:13], v[2:3] offset1:20
	v_pk_add_f32 v[2:3], v[30:31], v[26:27]
	v_pk_add_f32 v[4:5], v[30:31], v[26:27] neg_lo:[0,1] neg_hi:[0,1]
	v_pk_fma_f32 v[2:3], v[2:3], 0.5, v[24:25] op_sel_hi:[1,0,1] neg_lo:[1,0,0] neg_hi:[1,0,0]
	v_pk_mul_f32 v[4:5], v[4:5], s[4:5] op_sel_hi:[1,0]
	v_mov_b32_e32 v43, v15
	v_pk_add_f32 v[14:15], v[24:25], v[30:31]
	v_pk_add_f32 v[10:11], v[2:3], v[4:5] op_sel:[0,1] op_sel_hi:[1,0] neg_lo:[0,1] neg_hi:[0,1]
	v_pk_add_f32 v[2:3], v[2:3], v[4:5] op_sel:[0,1] op_sel_hi:[1,0]
	v_mov_b32_e32 v39, v9
	v_pk_add_f32 v[14:15], v[14:15], v[26:27]
	v_mov_b32_e32 v17, v33
	v_mov_b32_e32 v4, v10
	;; [unrolled: 1-line block ×4, first 2 shown]
	ds_write_b64 v51, v[16:17] offset:320
	ds_write2_b64 v29, v[14:15], v[4:5] offset1:20
	ds_write_b64 v29, v[2:3] offset:320
	v_pk_add_f32 v[2:3], v[38:39], v[42:43]
	v_pk_add_f32 v[4:5], v[38:39], v[42:43] neg_lo:[0,1] neg_hi:[0,1]
	v_pk_fma_f32 v[2:3], v[2:3], 0.5, v[22:23] op_sel_hi:[1,0,1] neg_lo:[1,0,0] neg_hi:[1,0,0]
	v_pk_mul_f32 v[4:5], v[4:5], s[4:5] op_sel_hi:[1,0]
	v_pk_add_f32 v[8:9], v[22:23], v[38:39]
	v_pk_add_f32 v[10:11], v[2:3], v[4:5] op_sel:[0,1] op_sel_hi:[1,0] neg_lo:[0,1] neg_hi:[0,1]
	v_pk_add_f32 v[2:3], v[2:3], v[4:5] op_sel:[0,1] op_sel_hi:[1,0]
	v_mul_lo_u16_e32 v51, 43, v28
	v_mov_b32_e32 v5, v3
	v_mov_b32_e32 v3, v11
	;; [unrolled: 1-line block ×3, first 2 shown]
	v_pk_add_f32 v[8:9], v[8:9], v[42:43]
	v_mov_b32_e32 v4, v10
	ds_write_b64 v52, v[2:3] offset:320
	v_mul_lo_u16_sdwa v2, v51, v11 dst_sel:DWORD dst_unused:UNUSED_PAD src0_sel:BYTE_1 src1_sel:DWORD
	ds_write2_b64 v52, v[8:9], v[4:5] offset1:20
	v_mov_b32_e32 v16, 3
	v_sub_u16_e32 v52, v28, v2
	v_mul_u32_u24_sdwa v2, v52, v16 dst_sel:DWORD dst_unused:UNUSED_PAD src0_sel:BYTE_0 src1_sel:DWORD
	v_lshlrev_b32_e32 v10, 3, v2
	s_waitcnt lgkmcnt(0)
	s_barrier
	global_load_dwordx4 v[2:5], v10, s[12:13] offset:32
	global_load_dwordx2 v[8:9], v10, s[12:13] offset:48
	v_mul_lo_u16_e32 v10, 43, v1
	v_mul_lo_u16_sdwa v12, v10, v11 dst_sel:DWORD dst_unused:UNUSED_PAD src0_sel:BYTE_1 src1_sel:DWORD
	v_sub_u16_e32 v53, v1, v12
	v_mul_u32_u24_sdwa v12, v53, v16 dst_sel:DWORD dst_unused:UNUSED_PAD src0_sel:BYTE_0 src1_sel:DWORD
	v_lshlrev_b32_e32 v17, 3, v12
	global_load_dwordx4 v[12:15], v17, s[12:13] offset:32
	global_load_dwordx2 v[32:33], v17, s[12:13] offset:48
	v_mul_lo_u16_sdwa v11, v54, v11 dst_sel:DWORD dst_unused:UNUSED_PAD src0_sel:BYTE_1 src1_sel:DWORD
	v_sub_u16_e32 v11, v36, v11
	v_mul_u32_u24_sdwa v16, v11, v16 dst_sel:DWORD dst_unused:UNUSED_PAD src0_sel:BYTE_0 src1_sel:DWORD
	v_lshlrev_b32_e32 v20, 3, v16
	global_load_dwordx2 v[42:43], v20, s[12:13] offset:48
	global_load_dwordx4 v[16:19], v20, s[12:13] offset:32
	v_add_u32_e32 v20, 0x1800, v6
	v_add_u32_e32 v28, 0x2000, v6
	;; [unrolled: 1-line block ×3, first 2 shown]
	ds_read2_b64 v[20:23], v20 offset0:72 offset1:212
	ds_read2_b64 v[24:27], v24 offset0:48 offset1:188
	;; [unrolled: 1-line block ×3, first 2 shown]
	v_add_u32_e32 v38, 0x2a00, v6
	ds_read2_b64 v[38:41], v38 offset0:56 offset1:196
	s_movk_i32 s4, 0x63
	v_cmp_lt_u32_e64 s[4:5], s4, v0
	s_waitcnt lgkmcnt(1)
	v_mov_b32_e32 v48, v29
	s_waitcnt vmcnt(5)
	v_mov_b32_e32 v44, v3
	v_pk_mul_f32 v[44:45], v[26:27], v[44:45] op_sel:[1,0] op_sel_hi:[0,1]
	v_pk_fma_f32 v[44:45], v[26:27], v[2:3], v[44:45]
	v_pk_mul_f32 v[2:3], v[26:27], v[2:3] op_sel:[1,0] op_sel_hi:[0,1]
	v_pk_mul_f32 v[26:27], v[28:29], v[4:5]
	v_mov_b32_e32 v50, v5
	v_mov_b32_e32 v26, v27
	v_pk_fma_f32 v[26:27], v[28:29], v[4:5], v[26:27]
	v_pk_mul_f32 v[28:29], v[28:29], v[50:51]
	s_nop 0
	v_pk_fma_f32 v[4:5], v[48:49], v[4:5], v[28:29] neg_lo:[0,0,1] neg_hi:[0,0,1]
	s_waitcnt vmcnt(4)
	v_mov_b32_e32 v28, v9
	s_waitcnt lgkmcnt(0)
	v_pk_mul_f32 v[28:29], v[40:41], v[28:29] op_sel:[1,0] op_sel_hi:[0,1]
	v_pk_fma_f32 v[28:29], v[40:41], v[8:9], v[28:29]
	v_pk_mul_f32 v[8:9], v[40:41], v[8:9] op_sel:[1,0] op_sel_hi:[0,1]
	v_mov_b32_e32 v40, v2
	v_mov_b32_e32 v41, v8
	;; [unrolled: 1-line block ×3, first 2 shown]
	v_pk_add_f32 v[2:3], v[40:41], v[8:9] neg_lo:[0,1] neg_hi:[0,1]
	v_mov_b32_e32 v8, v25
	s_waitcnt vmcnt(3)
	v_pk_mul_f32 v[40:41], v[12:13], v[24:25] op_sel:[1,0] op_sel_hi:[0,0]
	v_pk_fma_f32 v[8:9], v[12:13], v[8:9], v[40:41] neg_lo:[0,0,1] neg_hi:[0,0,1]
	v_pk_fma_f32 v[12:13], v[12:13], v[24:25], v[40:41] op_sel:[0,1,0]
	v_mov_b32_e32 v24, v23
	v_mov_b32_e32 v9, v13
	;; [unrolled: 1-line block ×4, first 2 shown]
	v_pk_mul_f32 v[14:15], v[14:15], v[22:23] op_sel_hi:[1,0]
	v_mov_b32_e32 v5, 24
	v_pk_fma_f32 v[24:25], v[12:13], v[24:25], v[14:15]
	v_pk_fma_f32 v[12:13], v[12:13], v[22:23], v[14:15] op_sel:[0,1,0] neg_lo:[0,0,1] neg_hi:[0,0,1]
	ds_read_b64 v[22:23], v7
	v_mov_b32_e32 v12, v39
	s_waitcnt vmcnt(2)
	v_pk_mul_f32 v[14:15], v[38:39], v[32:33] op_sel:[0,1] op_sel_hi:[0,0]
	v_mov_b32_e32 v25, v13
	v_pk_fma_f32 v[12:13], v[12:13], v[32:33], v[14:15] neg_lo:[0,0,1] neg_hi:[0,0,1]
	v_pk_fma_f32 v[14:15], v[38:39], v[32:33], v[14:15] op_sel:[1,0,0]
	v_mul_u32_u24_sdwa v27, v54, v5 dst_sel:DWORD dst_unused:UNUSED_PAD src0_sel:BYTE_1 src1_sel:DWORD
	v_mov_b32_e32 v13, v15
	ds_read_b64 v[14:15], v6
	s_waitcnt lgkmcnt(1)
	v_pk_add_f32 v[24:25], v[22:23], v[24:25] neg_lo:[0,1] neg_hi:[0,1]
	v_pk_add_f32 v[12:13], v[8:9], v[12:13] neg_lo:[0,1] neg_hi:[0,1]
	v_or_b32_sdwa v11, v27, v11 dst_sel:DWORD dst_unused:UNUSED_PAD src0_sel:DWORD src1_sel:BYTE_0
	v_pk_add_f32 v[48:49], v[24:25], v[12:13]
	v_pk_add_f32 v[32:33], v[24:25], v[12:13] neg_lo:[0,1] neg_hi:[0,1]
	v_mul_u32_u24_sdwa v27, v10, v5 dst_sel:DWORD dst_unused:UNUSED_PAD src0_sel:BYTE_1 src1_sel:DWORD
	v_mov_b32_e32 v49, v33
	ds_read_b64 v[32:33], v47
	ds_read_b64 v[38:39], v37
	v_or_b32_sdwa v27, v27, v53 dst_sel:DWORD dst_unused:UNUSED_PAD src0_sel:DWORD src1_sel:BYTE_0
	v_mul_u32_u24_e32 v27, 0x50, v27
	v_mul_u32_u24_sdwa v5, v51, v5 dst_sel:DWORD dst_unused:UNUSED_PAD src0_sel:BYTE_1 src1_sel:DWORD
	v_add3_u32 v40, 0, v27, v35
	v_or_b32_sdwa v5, v5, v52 dst_sel:DWORD dst_unused:UNUSED_PAD src0_sel:DWORD src1_sel:BYTE_0
	v_mov_b32_e32 v27, v4
	v_mov_b32_e32 v45, v2
	;; [unrolled: 1-line block ×3, first 2 shown]
	v_mul_u32_u24_e32 v11, 0x50, v11
	v_mul_u32_u24_e32 v5, 0x50, v5
	s_waitcnt lgkmcnt(0)
	v_pk_add_f32 v[26:27], v[38:39], v[26:27] neg_lo:[0,1] neg_hi:[0,1]
	v_pk_add_f32 v[28:29], v[44:45], v[28:29] neg_lo:[0,1] neg_hi:[0,1]
	v_add3_u32 v11, 0, v11, v35
	v_add3_u32 v35, 0, v5, v35
	v_pk_fma_f32 v[4:5], v[38:39], 2.0, v[26:27] op_sel_hi:[1,0,1] neg_lo:[0,0,1] neg_hi:[0,0,1]
	v_pk_fma_f32 v[2:3], v[44:45], 2.0, v[28:29] op_sel_hi:[1,0,1] neg_lo:[0,0,1] neg_hi:[0,0,1]
	;; [unrolled: 1-line block ×3, first 2 shown]
	v_pk_add_f32 v[2:3], v[4:5], v[2:3] neg_lo:[0,1] neg_hi:[0,1]
	s_waitcnt vmcnt(0)
	v_pk_mul_f32 v[12:13], v[16:17], v[32:33] op_sel:[0,1]
	v_pk_fma_f32 v[52:53], v[4:5], 2.0, v[2:3] op_sel_hi:[1,0,1] neg_lo:[0,0,1] neg_hi:[0,0,1]
	v_pk_fma_f32 v[4:5], v[22:23], 2.0, v[24:25] op_sel_hi:[1,0,1] neg_lo:[0,0,1] neg_hi:[0,0,1]
	v_pk_fma_f32 v[22:23], v[16:17], v[32:33], v[12:13] op_sel:[0,0,1] op_sel_hi:[1,1,0]
	v_pk_fma_f32 v[12:13], v[16:17], v[32:33], v[12:13] op_sel:[0,0,1] op_sel_hi:[1,0,0] neg_lo:[1,0,0] neg_hi:[1,0,0]
	v_pk_add_f32 v[8:9], v[4:5], v[8:9] op_sel:[0,1] op_sel_hi:[1,0] neg_lo:[0,1] neg_hi:[0,1]
	v_mov_b32_e32 v23, v13
	v_pk_mul_f32 v[12:13], v[18:19], v[20:21] op_sel:[0,1]
	v_pk_fma_f32 v[4:5], v[4:5], 2.0, v[8:9] op_sel_hi:[1,0,1] neg_lo:[0,0,1] neg_hi:[0,0,1]
	v_pk_fma_f32 v[16:17], v[18:19], v[20:21], v[12:13] op_sel:[0,0,1] op_sel_hi:[1,1,0]
	v_pk_fma_f32 v[12:13], v[18:19], v[20:21], v[12:13] op_sel:[0,0,1] op_sel_hi:[1,0,0] neg_lo:[1,0,0] neg_hi:[1,0,0]
	s_nop 0
	v_mov_b32_e32 v17, v13
	v_pk_mul_f32 v[12:13], v[42:43], v[30:31] op_sel:[0,1]
	s_barrier
	v_pk_fma_f32 v[18:19], v[42:43], v[30:31], v[12:13] op_sel:[0,0,1] op_sel_hi:[1,1,0]
	v_pk_fma_f32 v[12:13], v[42:43], v[30:31], v[12:13] op_sel:[0,0,1] op_sel_hi:[1,0,0] neg_lo:[1,0,0] neg_hi:[1,0,0]
	s_nop 0
	v_mov_b32_e32 v19, v13
	v_pk_add_f32 v[12:13], v[14:15], v[16:17] neg_lo:[0,1] neg_hi:[0,1]
	v_pk_add_f32 v[16:17], v[22:23], v[18:19] neg_lo:[0,1] neg_hi:[0,1]
	v_pk_fma_f32 v[14:15], v[14:15], 2.0, v[12:13] op_sel_hi:[1,0,1] neg_lo:[0,0,1] neg_hi:[0,0,1]
	v_pk_fma_f32 v[18:19], v[22:23], 2.0, v[16:17] op_sel_hi:[1,0,1] neg_lo:[0,0,1] neg_hi:[0,0,1]
	v_pk_add_f32 v[20:21], v[12:13], v[16:17] op_sel:[0,1] op_sel_hi:[1,0]
	v_pk_add_f32 v[16:17], v[12:13], v[16:17] op_sel:[0,1] op_sel_hi:[1,0] neg_lo:[0,1] neg_hi:[0,1]
	v_pk_add_f32 v[18:19], v[14:15], v[18:19] neg_lo:[0,1] neg_hi:[0,1]
	v_mov_b32_e32 v21, v17
	v_pk_fma_f32 v[14:15], v[14:15], 2.0, v[18:19] op_sel_hi:[1,0,1] neg_lo:[0,0,1] neg_hi:[0,0,1]
	v_pk_fma_f32 v[12:13], v[12:13], 2.0, v[20:21] op_sel_hi:[1,0,1] neg_lo:[0,0,1] neg_hi:[0,0,1]
	ds_write2_b64 v11, v[14:15], v[12:13] offset1:60
	ds_write2_b64 v11, v[18:19], v[20:21] offset0:120 offset1:180
	v_pk_fma_f32 v[12:13], v[24:25], 2.0, v[48:49] op_sel_hi:[1,0,1] neg_lo:[0,0,1] neg_hi:[0,0,1]
	ds_write2_b64 v40, v[4:5], v[12:13] offset1:60
	ds_write2_b64 v40, v[8:9], v[48:49] offset0:120 offset1:180
	v_pk_add_f32 v[4:5], v[26:27], v[28:29] op_sel:[0,1] op_sel_hi:[1,0]
	v_pk_add_f32 v[8:9], v[26:27], v[28:29] op_sel:[0,1] op_sel_hi:[1,0] neg_lo:[0,1] neg_hi:[0,1]
	s_nop 0
	v_mov_b32_e32 v5, v9
	v_pk_fma_f32 v[54:55], v[26:27], 2.0, v[4:5] op_sel_hi:[1,0,1] neg_lo:[0,0,1] neg_hi:[0,0,1]
	v_add_u32_e32 v8, 0xf00, v6
	ds_write2_b64 v35, v[52:53], v[54:55] offset1:60
	ds_write2_b64 v35, v[2:3], v[4:5] offset0:120 offset1:180
	s_waitcnt lgkmcnt(0)
	s_barrier
	ds_read2_b64 v[30:33], v8 offset1:240
	v_add_u32_e32 v8, 0x1e00, v6
	ds_read2_b64 v[22:25], v6 offset1:240
	ds_read2_b64 v[26:29], v8 offset1:240
	ds_read_b64 v[86:87], v6 offset:11520
                                        ; implicit-def: $vgpr8
	s_and_saveexec_b64 s[14:15], s[4:5]
	s_xor_b64 s[4:5], exec, s[14:15]
; %bb.27:
	v_mov_b32_e32 v8, v4
	v_mov_b64_e32 v[56:57], v[4:5]
                                        ; implicit-def: $vgpr7
                                        ; implicit-def: $vgpr6
; %bb.28:
	s_andn2_saveexec_b64 s[4:5], s[4:5]
	s_cbranch_execz .LBB0_30
; %bb.29:
	v_add_u32_e32 v2, 0x1a80, v6
	v_add_u32_e32 v3, 0x2980, v6
	ds_read_b64 v[48:49], v7
	ds_read_b64 v[52:53], v6 offset:3040
	v_add_u32_e32 v11, 0x1000, v6
	ds_read2_b64 v[6:9], v3 offset0:12 offset1:252
	ds_read2_b64 v[2:5], v2 offset0:12 offset1:252
	ds_read2_b32 v[54:55], v11 offset0:216 offset1:217
	s_waitcnt lgkmcnt(2)
	v_mov_b32_e32 v56, v8
	s_waitcnt lgkmcnt(1)
	v_mov_b32_e32 v57, v5
.LBB0_30:
	s_or_b64 exec, exec, s[4:5]
	v_lshrrev_b16_e32 v51, 10, v10
	v_mul_lo_u16_e32 v5, 24, v51
	v_sub_u16_e32 v5, v1, v5
	s_load_dwordx2 s[4:5], s[0:1], 0x8
	v_and_b32_e32 v35, 0xff, v5
	v_mul_u32_u24_e32 v5, 6, v35
	v_lshlrev_b32_e32 v5, 3, v5
	global_load_dwordx4 v[14:17], v5, s[12:13] offset:208
	global_load_dwordx4 v[10:13], v5, s[12:13] offset:192
	;; [unrolled: 1-line block ×3, first 2 shown]
	v_mul_lo_u32 v37, v46, v35
	v_mov_b32_e32 v5, 3
	v_add_u32_e32 v39, 24, v35
	v_lshlrev_b32_sdwa v38, v5, v37 dst_sel:DWORD dst_unused:UNUSED_PAD src0_sel:DWORD src1_sel:BYTE_0
	v_lshlrev_b32_sdwa v37, v5, v37 dst_sel:DWORD dst_unused:UNUSED_PAD src0_sel:DWORD src1_sel:BYTE_1
	v_mul_lo_u32 v39, v46, v39
	v_lshlrev_b32_sdwa v40, v5, v39 dst_sel:DWORD dst_unused:UNUSED_PAD src0_sel:DWORD src1_sel:BYTE_0
	v_lshlrev_b32_sdwa v39, v5, v39 dst_sel:DWORD dst_unused:UNUSED_PAD src0_sel:DWORD src1_sel:BYTE_1
	s_waitcnt lgkmcnt(0)
	global_load_dwordx2 v[62:63], v38, s[4:5]
	global_load_dwordx2 v[64:65], v37, s[4:5] offset:2048
	global_load_dwordx2 v[58:59], v40, s[4:5]
	global_load_dwordx2 v[60:61], v39, s[4:5] offset:2048
	v_add_u32_e32 v37, 48, v35
	v_mul_lo_u32 v37, v46, v37
	v_add_u32_e32 v39, 0x48, v35
	v_lshlrev_b32_sdwa v38, v5, v37 dst_sel:DWORD dst_unused:UNUSED_PAD src0_sel:DWORD src1_sel:BYTE_0
	v_lshlrev_b32_sdwa v37, v5, v37 dst_sel:DWORD dst_unused:UNUSED_PAD src0_sel:DWORD src1_sel:BYTE_1
	v_mul_lo_u32 v39, v46, v39
	v_lshlrev_b32_sdwa v40, v5, v39 dst_sel:DWORD dst_unused:UNUSED_PAD src0_sel:DWORD src1_sel:BYTE_0
	v_lshlrev_b32_sdwa v39, v5, v39 dst_sel:DWORD dst_unused:UNUSED_PAD src0_sel:DWORD src1_sel:BYTE_1
	global_load_dwordx2 v[70:71], v38, s[4:5]
	global_load_dwordx2 v[72:73], v37, s[4:5] offset:2048
	global_load_dwordx2 v[66:67], v40, s[4:5]
	global_load_dwordx2 v[68:69], v39, s[4:5] offset:2048
	v_or_b32_e32 v37, 0x60, v35
	v_mul_lo_u32 v37, v46, v37
	v_add_u32_e32 v39, 0x78, v35
	v_lshlrev_b32_sdwa v38, v5, v37 dst_sel:DWORD dst_unused:UNUSED_PAD src0_sel:DWORD src1_sel:BYTE_0
	v_mul_lo_u32 v39, v46, v39
	v_add_u32_e32 v35, 0x90, v35
	v_lshlrev_b32_sdwa v37, v5, v37 dst_sel:DWORD dst_unused:UNUSED_PAD src0_sel:DWORD src1_sel:BYTE_1
	v_lshlrev_b32_sdwa v40, v5, v39 dst_sel:DWORD dst_unused:UNUSED_PAD src0_sel:DWORD src1_sel:BYTE_0
	v_lshlrev_b32_sdwa v39, v5, v39 dst_sel:DWORD dst_unused:UNUSED_PAD src0_sel:DWORD src1_sel:BYTE_1
	global_load_dwordx2 v[78:79], v38, s[4:5]
	global_load_dwordx2 v[82:83], v37, s[4:5] offset:2048
	global_load_dwordx2 v[74:75], v40, s[4:5]
	global_load_dwordx2 v[76:77], v39, s[4:5] offset:2048
	v_mul_lo_u32 v35, v46, v35
	v_lshlrev_b32_sdwa v37, v5, v35 dst_sel:DWORD dst_unused:UNUSED_PAD src0_sel:DWORD src1_sel:BYTE_0
	v_lshlrev_b32_sdwa v35, v5, v35 dst_sel:DWORD dst_unused:UNUSED_PAD src0_sel:DWORD src1_sel:BYTE_1
	global_load_dwordx2 v[80:81], v37, s[4:5]
	global_load_dwordx2 v[84:85], v35, s[4:5] offset:2048
	v_add_u32_e32 v50, s11, v34
	s_and_saveexec_b64 s[0:1], s[6:7]
	s_cbranch_execz .LBB0_32
; %bb.31:
	v_mul_lo_u16_e32 v34, 11, v36
	v_mov_b32_e32 v35, 24
	v_mul_lo_u16_sdwa v34, v34, v35 dst_sel:DWORD dst_unused:UNUSED_PAD src0_sel:BYTE_1 src1_sel:DWORD
	v_sub_u16_e32 v34, v36, v34
	v_and_b32_e32 v47, 0xff, v34
	v_mul_u32_u24_e32 v34, 6, v47
	v_lshlrev_b32_e32 v88, 3, v34
	global_load_dwordx4 v[34:37], v88, s[12:13] offset:208
	global_load_dwordx4 v[42:45], v88, s[12:13] offset:192
	;; [unrolled: 1-line block ×3, first 2 shown]
	v_add_u32_e32 v88, 0x90, v47
	v_mul_lo_u32 v88, v46, v88
	v_lshlrev_b32_sdwa v96, v5, v88 dst_sel:DWORD dst_unused:UNUSED_PAD src0_sel:DWORD src1_sel:BYTE_0
	v_lshlrev_b32_sdwa v97, v5, v88 dst_sel:DWORD dst_unused:UNUSED_PAD src0_sel:DWORD src1_sel:BYTE_1
	v_add_u32_e32 v88, 0x78, v47
	v_mul_lo_u32 v88, v46, v88
	v_lshlrev_b32_sdwa v98, v5, v88 dst_sel:DWORD dst_unused:UNUSED_PAD src0_sel:DWORD src1_sel:BYTE_0
	v_lshlrev_b32_sdwa v99, v5, v88 dst_sel:DWORD dst_unused:UNUSED_PAD src0_sel:DWORD src1_sel:BYTE_1
	global_load_dwordx2 v[88:89], v96, s[4:5]
	global_load_dwordx2 v[90:91], v97, s[4:5] offset:2048
	global_load_dwordx2 v[92:93], v98, s[4:5]
	global_load_dwordx2 v[94:95], v99, s[4:5] offset:2048
	v_or_b32_e32 v96, 0x60, v47
	v_mul_lo_u32 v96, v46, v96
	v_lshlrev_b32_sdwa v104, v5, v96 dst_sel:DWORD dst_unused:UNUSED_PAD src0_sel:DWORD src1_sel:BYTE_0
	v_lshlrev_b32_sdwa v105, v5, v96 dst_sel:DWORD dst_unused:UNUSED_PAD src0_sel:DWORD src1_sel:BYTE_1
	v_add_u32_e32 v96, 0x48, v47
	v_mul_lo_u32 v96, v46, v96
	v_lshlrev_b32_sdwa v106, v5, v96 dst_sel:DWORD dst_unused:UNUSED_PAD src0_sel:DWORD src1_sel:BYTE_0
	v_lshlrev_b32_sdwa v107, v5, v96 dst_sel:DWORD dst_unused:UNUSED_PAD src0_sel:DWORD src1_sel:BYTE_1
	global_load_dwordx2 v[96:97], v104, s[4:5]
	global_load_dwordx2 v[98:99], v105, s[4:5] offset:2048
	global_load_dwordx2 v[100:101], v106, s[4:5]
	global_load_dwordx2 v[102:103], v107, s[4:5] offset:2048
	v_add_u32_e32 v104, 48, v47
	v_mul_lo_u32 v104, v46, v104
	v_lshlrev_b32_sdwa v112, v5, v104 dst_sel:DWORD dst_unused:UNUSED_PAD src0_sel:DWORD src1_sel:BYTE_0
	v_lshlrev_b32_sdwa v113, v5, v104 dst_sel:DWORD dst_unused:UNUSED_PAD src0_sel:DWORD src1_sel:BYTE_1
	v_add_u32_e32 v104, 24, v47
	v_mul_lo_u32 v104, v46, v104
	v_mul_lo_u32 v46, v46, v47
	v_lshlrev_b32_sdwa v114, v5, v104 dst_sel:DWORD dst_unused:UNUSED_PAD src0_sel:DWORD src1_sel:BYTE_0
	v_lshlrev_b32_sdwa v115, v5, v104 dst_sel:DWORD dst_unused:UNUSED_PAD src0_sel:DWORD src1_sel:BYTE_1
	global_load_dwordx2 v[104:105], v112, s[4:5]
	global_load_dwordx2 v[106:107], v113, s[4:5] offset:2048
	global_load_dwordx2 v[108:109], v114, s[4:5]
	global_load_dwordx2 v[110:111], v115, s[4:5] offset:2048
	v_lshlrev_b32_sdwa v116, v5, v46 dst_sel:DWORD dst_unused:UNUSED_PAD src0_sel:DWORD src1_sel:BYTE_0
	v_lshlrev_b32_sdwa v5, v5, v46 dst_sel:DWORD dst_unused:UNUSED_PAD src0_sel:DWORD src1_sel:BYTE_1
	global_load_dwordx2 v[112:113], v116, s[4:5]
	global_load_dwordx2 v[114:115], v5, s[4:5] offset:2048
	s_movk_i32 s4, 0x112
	s_movk_i32 s5, 0xa8
	v_mul_u32_u24_sdwa v5, v0, s4 dst_sel:DWORD dst_unused:UNUSED_PAD src0_sel:WORD_0 src1_sel:DWORD
	v_mul_lo_u16_sdwa v5, v5, s5 dst_sel:DWORD dst_unused:UNUSED_PAD src0_sel:WORD_1 src1_sel:DWORD
	v_add_u32_e32 v5, v47, v5
	s_waitcnt vmcnt(16)
	v_mov_b32_e32 v117, v34
	s_waitcnt vmcnt(15)
	v_mov_b32_e32 v116, v45
	s_waitcnt vmcnt(14)
	v_pk_mul_f32 v[118:119], v[40:41], v[30:31]
	s_waitcnt vmcnt(12)
	v_pk_mul_f32 v[120:121], v[88:89], v[90:91] op_sel:[1,0] op_sel_hi:[0,1]
	v_mov_b32_e32 v46, v91
	s_waitcnt vmcnt(10)
	v_mov_b32_e32 v120, v95
	v_pk_mul_f32 v[122:123], v[92:93], v[94:95] op_sel:[1,0] op_sel_hi:[0,1]
	s_waitcnt vmcnt(8)
	v_mul_f32_e32 v47, v97, v99
	v_mul_f32_e32 v126, v96, v99
	s_waitcnt vmcnt(6)
	v_pk_mul_f32 v[124:125], v[100:101], v[102:103] op_sel:[1,0] op_sel_hi:[0,1]
	v_fma_f32 v130, v96, v98, -v47
	v_fmac_f32_e32 v126, v97, v98
	v_pk_mul_f32 v[46:47], v[88:89], v[46:47] op_sel:[1,0] op_sel_hi:[0,1]
	v_mov_b32_e32 v96, v121
	v_pk_mul_f32 v[98:99], v[92:93], v[120:121] op_sel:[1,0] op_sel_hi:[0,1]
	v_mov_b32_e32 v120, v123
	v_mov_b32_e32 v124, v125
	s_waitcnt vmcnt(4)
	v_mul_f32_e32 v127, v105, v107
	v_mul_f32_e32 v128, v104, v107
	s_waitcnt vmcnt(2)
	v_mul_f32_e32 v107, v109, v111
	v_mul_f32_e32 v129, v108, v111
	v_fma_f32 v125, v104, v106, -v127
	v_fmac_f32_e32 v128, v105, v106
	v_fma_f32 v127, v108, v110, -v107
	v_fmac_f32_e32 v129, v109, v110
	v_pk_fma_f32 v[104:105], v[88:89], v[90:91], v[46:47] neg_lo:[0,0,1] neg_hi:[0,0,1]
	v_pk_fma_f32 v[90:91], v[88:89], v[90:91], v[96:97] op_sel:[1,0,0] op_sel_hi:[0,1,1]
	v_pk_fma_f32 v[96:97], v[92:93], v[94:95], v[98:99] neg_lo:[0,0,1] neg_hi:[0,0,1]
	v_pk_fma_f32 v[92:93], v[92:93], v[94:95], v[120:121] op_sel:[1,0,0] op_sel_hi:[0,1,1]
	s_waitcnt vmcnt(0)
	v_mul_f32_e32 v98, v113, v115
	v_mul_f32_e32 v131, v112, v115
	v_mov_b32_e32 v108, v25
	v_mov_b32_e32 v109, v32
	;; [unrolled: 1-line block ×4, first 2 shown]
	v_pk_fma_f32 v[88:89], v[100:101], v[102:103], v[124:125] op_sel:[1,0,0] op_sel_hi:[0,1,1]
	v_fma_f32 v124, v112, v114, -v98
	v_fmac_f32_e32 v131, v114, v113
	v_mov_b32_e32 v106, v24
	v_mov_b32_e32 v107, v33
	;; [unrolled: 1-line block ×4, first 2 shown]
	v_pk_mul_f32 v[108:109], v[120:121], v[108:109]
	v_mov_b32_e32 v122, v103
	v_mov_b32_e32 v112, v87
	v_mov_b32_e32 v113, v26
	v_pk_fma_f32 v[120:121], v[114:115], v[106:107], v[108:109]
	v_pk_fma_f32 v[106:107], v[114:115], v[106:107], v[108:109] neg_lo:[0,0,1] neg_hi:[0,0,1]
	v_mov_b32_e32 v114, v37
	v_mov_b32_e32 v115, v45
	v_pk_mul_f32 v[122:123], v[100:101], v[122:123] op_sel:[1,0] op_sel_hi:[0,1]
	v_mov_b32_e32 v110, v86
	v_mov_b32_e32 v111, v27
	;; [unrolled: 1-line block ×4, first 2 shown]
	v_pk_mul_f32 v[112:113], v[114:115], v[112:113]
	v_pk_fma_f32 v[46:47], v[100:101], v[102:103], v[122:123] neg_lo:[0,0,1] neg_hi:[0,0,1]
	v_pk_fma_f32 v[114:115], v[108:109], v[110:111], v[112:113]
	v_pk_fma_f32 v[108:109], v[108:109], v[110:111], v[112:113] neg_lo:[0,0,1] neg_hi:[0,0,1]
	v_mov_b32_e32 v111, v40
	v_mov_b32_e32 v40, v43
	v_mov_b32_e32 v122, v33
	v_mov_b32_e32 v123, v30
	v_mov_b32_e32 v112, v32
	v_mov_b32_e32 v113, v31
	v_pk_mul_f32 v[30:31], v[40:41], v[122:123]
	v_mov_b32_e32 v110, v42
	v_pk_fma_f32 v[32:33], v[42:43], v[32:33], v[30:31] op_sel_hi:[1,0,1]
	v_pk_fma_f32 v[30:31], v[110:111], v[112:113], v[30:31] neg_lo:[0,0,1] neg_hi:[0,0,1]
	v_mov_b32_e32 v45, v35
	v_mov_b32_e32 v110, v26
	;; [unrolled: 1-line block ×3, first 2 shown]
	v_pk_mul_f32 v[34:35], v[34:35], v[28:29]
	v_mad_u64_u32 v[94:95], s[4:5], s10, v5, v[50:51]
	v_add_u32_e32 v98, 24, v5
	v_add_u32_e32 v100, 48, v5
	;; [unrolled: 1-line block ×6, first 2 shown]
	v_pk_mul_f32 v[44:45], v[44:45], v[110:111]
	v_mov_b32_e32 v110, v118
	v_mov_b32_e32 v111, v34
	;; [unrolled: 1-line block ×4, first 2 shown]
	v_mad_u64_u32 v[112:113], s[4:5], s10, v5, v[50:51]
	v_pk_add_f32 v[34:35], v[110:111], v[34:35]
	v_pk_fma_f32 v[26:27], v[116:117], v[26:27], v[44:45] op_sel:[0,1,0]
	v_pk_fma_f32 v[28:29], v[116:117], v[28:29], v[44:45] neg_lo:[0,0,1] neg_hi:[0,0,1]
	v_mul_f32_e32 v5, v39, v24
	v_mad_u64_u32 v[40:41], s[4:5], s10, v33, v[50:51]
	v_mad_u64_u32 v[42:43], s[4:5], s10, v30, v[50:51]
	v_mov_b32_e32 v121, v107
	v_mov_b32_e32 v115, v109
	;; [unrolled: 1-line block ×4, first 2 shown]
	v_fma_f32 v24, v38, v25, -v5
	v_mul_f32_e32 v5, v37, v86
	v_mov_b32_e32 v30, v35
	v_mad_u64_u32 v[98:99], s[4:5], s10, v98, v[50:51]
	v_mad_u64_u32 v[100:101], s[4:5], s10, v100, v[50:51]
	;; [unrolled: 1-line block ×3, first 2 shown]
	v_fma_f32 v28, v36, v87, -v5
	v_pk_add_f32 v[38:39], v[32:33], v[26:27]
	v_pk_add_f32 v[44:45], v[34:35], v[30:31]
	;; [unrolled: 1-line block ×3, first 2 shown]
	v_add_f32_e32 v37, v24, v28
	v_mov_b32_e32 v36, v38
	v_mov_b32_e32 v45, v87
	s_mov_b32 s4, 0x3d64c772
	v_mov_b32_e32 v108, v109
	v_mov_b32_e32 v109, v26
	;; [unrolled: 1-line block ×7, first 2 shown]
	v_pk_add_f32 v[110:111], v[36:37], v[44:45] neg_lo:[0,1] neg_hi:[0,1]
	s_mov_b32 s5, 0x3f4a47b2
	v_mov_b32_e32 v36, v86
	v_mov_b32_e32 v45, v39
	v_pk_add_f32 v[26:27], v[108:109], v[26:27] neg_lo:[0,1] neg_hi:[0,1]
	v_pk_add_f32 v[30:31], v[30:31], v[34:35] neg_lo:[0,1] neg_hi:[0,1]
	v_mov_b32_e32 v25, v120
	v_mov_b32_e32 v29, v114
	v_pk_mul_f32 v[110:111], v[110:111], s[4:5]
	v_pk_add_f32 v[116:117], v[86:87], v[38:39] neg_lo:[0,1] neg_hi:[0,1]
	s_mov_b32 s6, s5
	s_mov_b32 s7, s4
	v_mov_b32_e32 v39, v87
	v_pk_add_f32 v[86:87], v[44:45], v[36:37]
	v_pk_add_f32 v[32:33], v[26:27], v[30:31]
	v_pk_add_f32 v[24:25], v[24:25], v[28:29] neg_lo:[0,1] neg_hi:[0,1]
	v_pk_add_f32 v[38:39], v[38:39], v[86:87]
	v_pk_mul_f32 v[86:87], v[116:117], s[6:7]
	v_pk_fma_f32 v[116:117], v[116:117], s[6:7], v[110:111]
	v_pk_add_f32 v[28:29], v[32:33], v[24:25]
	v_mov_b32_e32 v32, v26
	v_mov_b32_e32 v33, v25
	;; [unrolled: 1-line block ×4, first 2 shown]
	s_mov_b32 s6, 0x3f08b237
	v_pk_add_f32 v[32:33], v[32:33], v[34:35] neg_lo:[0,1] neg_hi:[0,1]
	s_mov_b32 s7, 0xbeae86e6
	v_mov_b32_e32 v34, v24
	v_mov_b32_e32 v27, v31
	v_pk_add_f32 v[22:23], v[38:39], v[22:23]
	s_mov_b32 s4, 0xbf955555
	v_pk_mul_f32 v[32:33], v[32:33], s[6:7]
	v_pk_add_f32 v[26:27], v[34:35], v[26:27] neg_lo:[0,1] neg_hi:[0,1]
	s_mov_b32 s12, s7
	s_mov_b32 s13, s6
	v_pk_fma_f32 v[38:39], v[38:39], s[4:5], v[22:23] op_sel_hi:[1,0,1]
	s_mov_b32 s4, 0xbee1c552
	v_pk_mul_f32 v[34:35], v[26:27], s[12:13]
	v_pk_fma_f32 v[26:27], v[26:27], s[12:13], v[32:33]
	v_pk_add_f32 v[116:117], v[116:117], v[38:39]
	v_pk_fma_f32 v[26:27], v[28:29], s[4:5], v[26:27] op_sel_hi:[1,0,1]
	v_mov_b32_e32 v95, 0
	v_pk_add_f32 v[106:107], v[116:117], v[26:27] neg_lo:[0,1] neg_hi:[0,1]
	v_pk_add_f32 v[26:27], v[116:117], v[26:27]
	v_mov_b32_e32 v115, v106
	v_mov_b32_e32 v114, v27
	;; [unrolled: 1-line block ×4, first 2 shown]
	v_pk_mul_f32 v[90:91], v[114:115], v[90:91] op_sel_hi:[1,0]
	v_mul_f32_e32 v5, v26, v129
	v_pk_fma_f32 v[114:115], v[106:107], v[104:105], v[90:91]
	v_pk_fma_f32 v[90:91], v[108:109], v[104:105], v[90:91] op_sel_hi:[1,0,1] neg_lo:[0,0,1] neg_hi:[0,0,1]
	v_mul_f32_e32 v104, v107, v129
	v_fma_f32 v105, v107, v127, -v5
	v_fmac_f32_e32 v104, v26, v127
	v_mul_f32_e32 v5, v22, v131
	v_mul_f32_e32 v26, v23, v131
	v_mov_b32_e32 v99, v95
	v_mov_b32_e32 v101, v95
	v_mov_b32_e32 v103, v95
	v_mov_b32_e32 v41, v95
	v_mov_b32_e32 v43, v95
	v_mov_b32_e32 v113, v95
	v_lshl_add_u64 v[94:95], v[94:95], 3, s[8:9]
	v_fma_f32 v27, v23, v124, -v5
	v_fmac_f32_e32 v26, v22, v124
	v_lshl_add_u64 v[98:99], v[98:99], 3, s[8:9]
	global_store_dwordx2 v[94:95], v[26:27], off
	global_store_dwordx2 v[98:99], v[104:105], off
	v_mov_b32_e32 v22, v86
	v_mov_b32_e32 v23, v111
	v_pk_add_f32 v[26:27], v[44:45], v[36:37] neg_lo:[0,1] neg_hi:[0,1]
	s_mov_b32 s6, 0x3f3bfb3b
	v_pk_add_f32 v[24:25], v[30:31], v[24:25] neg_lo:[0,1] neg_hi:[0,1]
	s_mov_b32 s12, 0xbf5ff5aa
	v_mov_b32_e32 v30, v34
	v_mov_b32_e32 v31, v33
	v_pk_fma_f32 v[22:23], v[26:27], s[6:7], v[22:23] op_sel_hi:[1,0,1] neg_lo:[1,0,1] neg_hi:[1,0,1]
	v_pk_fma_f32 v[30:31], v[24:25], s[12:13], v[30:31] op_sel_hi:[1,0,1] neg_lo:[1,0,1] neg_hi:[1,0,1]
	v_pk_add_f32 v[22:23], v[22:23], v[38:39]
	v_pk_fma_f32 v[30:31], v[28:29], s[4:5], v[30:31] op_sel_hi:[1,0,1]
	v_mov_b32_e32 v33, v35
	v_pk_add_f32 v[36:37], v[22:23], v[30:31] neg_lo:[0,1] neg_hi:[0,1]
	v_pk_add_f32 v[22:23], v[22:23], v[30:31]
	v_mov_b32_e32 v45, v36
	v_mov_b32_e32 v44, v23
	;; [unrolled: 1-line block ×4, first 2 shown]
	v_pk_mul_f32 v[44:45], v[44:45], v[92:93] op_sel_hi:[1,0]
	v_mov_b32_e32 v111, v87
	v_pk_fma_f32 v[92:93], v[36:37], v[96:97], v[44:45]
	v_pk_fma_f32 v[30:31], v[30:31], v[96:97], v[44:45] op_sel_hi:[1,0,1] neg_lo:[0,0,1] neg_hi:[0,0,1]
	v_mul_f32_e32 v44, v37, v128
	v_mul_f32_e32 v5, v22, v128
	v_fmac_f32_e32 v44, v22, v125
	v_pk_fma_f32 v[22:23], v[24:25], s[12:13], v[32:33] op_sel_hi:[1,0,1] neg_lo:[0,0,1] neg_hi:[0,0,1]
	v_pk_fma_f32 v[24:25], v[26:27], s[6:7], v[110:111] op_sel_hi:[1,0,1] neg_lo:[0,0,1] neg_hi:[0,0,1]
	v_pk_fma_f32 v[22:23], v[28:29], s[4:5], v[22:23] op_sel_hi:[1,0,1]
	v_pk_add_f32 v[24:25], v[24:25], v[38:39]
	v_fma_f32 v45, v37, v125, -v5
	v_pk_add_f32 v[26:27], v[24:25], v[22:23] neg_lo:[0,1] neg_hi:[0,1]
	v_pk_add_f32 v[22:23], v[22:23], v[24:25]
	v_mul_f32_e32 v24, v27, v126
	v_mov_b32_e32 v28, v23
	v_mov_b32_e32 v29, v26
	v_mul_f32_e32 v5, v22, v126
	v_fmac_f32_e32 v24, v22, v130
	v_mov_b32_e32 v22, v26
	v_pk_mul_f32 v[28:29], v[28:29], v[88:89] op_sel_hi:[1,0]
	v_fma_f32 v25, v27, v130, -v5
	v_pk_fma_f32 v[26:27], v[26:27], v[46:47], v[28:29]
	v_pk_fma_f32 v[22:23], v[22:23], v[46:47], v[28:29] op_sel_hi:[1,0,1] neg_lo:[0,0,1] neg_hi:[0,0,1]
	v_lshl_add_u64 v[100:101], v[100:101], 3, s[8:9]
	v_lshl_add_u64 v[102:103], v[102:103], 3, s[8:9]
	;; [unrolled: 1-line block ×4, first 2 shown]
	v_mov_b32_e32 v27, v23
	v_mov_b32_e32 v93, v31
	;; [unrolled: 1-line block ×3, first 2 shown]
	v_lshl_add_u64 v[40:41], v[40:41], 3, s[8:9]
	global_store_dwordx2 v[100:101], v[44:45], off
	global_store_dwordx2 v[102:103], v[26:27], off
	;; [unrolled: 1-line block ×5, first 2 shown]
.LBB0_32:
	s_or_b64 exec, exec, s[0:1]
	s_movk_i32 s4, 0x64
	s_movk_i32 s0, 0x63
	v_cmp_lt_u32_e64 s[0:1], s0, v0
	v_cmp_gt_u32_e64 s[4:5], s4, v0
	v_cndmask_b32_e64 v5, 0, 1, s[2:3]
	s_or_b64 vcc, s[0:1], vcc
	v_cndmask_b32_e64 v0, 0, 1, s[4:5]
	v_cndmask_b32_e32 v0, v5, v0, vcc
	v_and_b32_e32 v0, 1, v0
	v_cmp_eq_u32_e32 vcc, 1, v0
	s_and_saveexec_b64 s[0:1], vcc
	s_cbranch_execz .LBB0_34
; %bb.33:
	s_waitcnt vmcnt(14)
	v_mul_f32_e32 v0, v52, v19
	v_fma_f32 v30, v53, v18, -v0
	v_mul_f32_e32 v0, v8, v17
	v_mul_f32_e32 v33, v55, v21
	v_fma_f32 v8, v9, v16, -v0
	s_waitcnt vmcnt(12)
	v_mul_f32_e32 v0, v63, v65
	v_mul_f32_e32 v65, v62, v65
	v_fmac_f32_e32 v33, v54, v20
	v_fma_f32 v86, v62, v64, -v0
	v_fmac_f32_e32 v65, v63, v64
	s_waitcnt vmcnt(10)
	v_mul_f32_e32 v0, v59, v61
	v_mul_f32_e32 v87, v58, v61
	v_mov_b32_e32 v61, v20
	v_mov_b32_e32 v62, v3
	;; [unrolled: 1-line block ×4, first 2 shown]
	v_mul_f32_e32 v35, v7, v15
	v_pk_mul_f32 v[20:21], v[62:63], v[20:21]
	v_mov_b32_e32 v24, v53
	v_mov_b32_e32 v25, v2
	;; [unrolled: 1-line block ×4, first 2 shown]
	v_fma_f32 v64, v58, v60, -v0
	v_fmac_f32_e32 v87, v59, v60
	v_mov_b32_e32 v58, v2
	v_mov_b32_e32 v59, v55
	;; [unrolled: 1-line block ×3, first 2 shown]
	v_pk_fma_f32 v[2:3], v[2:3], v[10:11], v[20:21] op_sel_hi:[0,1,1]
	v_mov_b32_e32 v55, v10
	v_mov_b32_e32 v10, v19
	v_fmac_f32_e32 v35, v6, v14
	v_mov_b32_e32 v5, v6
	v_mov_b32_e32 v14, v12
	;; [unrolled: 1-line block ×5, first 2 shown]
	v_pk_mul_f32 v[10:11], v[24:25], v[10:11]
	v_mov_b32_e32 v24, v57
	v_mov_b32_e32 v25, v7
	v_pk_mul_f32 v[4:5], v[4:5], v[14:15]
	v_mov_b32_e32 v15, v12
	v_mov_b32_e32 v12, v17
	;; [unrolled: 1-line block ×3, first 2 shown]
	v_pk_fma_f32 v[20:21], v[58:59], v[60:61], v[20:21] neg_lo:[0,0,1] neg_hi:[0,0,1]
	v_mov_b32_e32 v54, v18
	v_pk_fma_f32 v[6:7], v[24:25], v[28:29], v[4:5]
	v_pk_fma_f32 v[4:5], v[24:25], v[28:29], v[4:5] neg_lo:[0,0,1] neg_hi:[0,0,1]
	v_mov_b32_e32 v14, v16
	v_pk_mul_f32 v[12:13], v[22:23], v[12:13]
	v_mov_b32_e32 v3, v21
	v_pk_fma_f32 v[18:19], v[26:27], v[54:55], v[10:11]
	v_pk_fma_f32 v[10:11], v[26:27], v[54:55], v[10:11] neg_lo:[0,0,1] neg_hi:[0,0,1]
	v_mov_b32_e32 v7, v5
	v_pk_fma_f32 v[16:17], v[56:57], v[14:15], v[12:13]
	v_pk_fma_f32 v[12:13], v[56:57], v[14:15], v[12:13] neg_lo:[0,0,1] neg_hi:[0,0,1]
	v_mov_b32_e32 v19, v11
	v_mov_b32_e32 v17, v13
	;; [unrolled: 1-line block ×6, first 2 shown]
	v_pk_add_f32 v[20:21], v[2:3], v[6:7]
	v_mov_b32_e32 v12, v13
	v_mov_b32_e32 v13, v6
	;; [unrolled: 1-line block ×4, first 2 shown]
	v_add_f32_e32 v37, v30, v8
	v_pk_add_f32 v[8:9], v[30:31], v[8:9] neg_lo:[0,1] neg_hi:[0,1]
	v_add_f32_e32 v4, v33, v35
	v_pk_add_f32 v[14:15], v[32:33], v[34:35] neg_lo:[0,1] neg_hi:[0,1]
	v_pk_add_f32 v[16:17], v[18:19], v[16:17]
	v_pk_add_f32 v[2:3], v[12:13], v[6:7] neg_lo:[0,1] neg_hi:[0,1]
	s_waitcnt vmcnt(8)
	v_mul_f32_e32 v0, v71, v73
	v_mov_b32_e32 v5, v21
	v_mov_b32_e32 v36, v16
	;; [unrolled: 1-line block ×10, first 2 shown]
	s_mov_b32 s2, 0x3d64c772
	s_mov_b32 s6, 0xbeae86e6
	v_fma_f32 v88, v70, v72, -v0
	s_waitcnt vmcnt(6)
	v_mov_b32_e32 v0, v69
	v_pk_mul_f32 v[40:41], v[66:67], v[68:69] op_sel:[1,0] op_sel_hi:[0,1]
	v_pk_add_f32 v[6:7], v[4:5], v[36:37]
	v_pk_add_f32 v[10:11], v[10:11], v[12:13] neg_lo:[0,1] neg_hi:[0,1]
	v_pk_add_f32 v[12:13], v[16:17], v[20:21] neg_lo:[0,1] neg_hi:[0,1]
	v_pk_add_f32 v[18:19], v[2:3], v[14:15]
	v_pk_add_f32 v[22:23], v[22:23], v[24:25] neg_lo:[0,1] neg_hi:[0,1]
	v_mov_b32_e32 v24, v8
	v_mov_b32_e32 v3, v15
	v_mov_b32_e32 v21, v17
	s_mov_b32 s3, 0x3f4a47b2
	s_mov_b32 s7, 0x3f08b237
	v_pk_mul_f32 v[38:39], v[66:67], v[0:1] op_sel:[1,0] op_sel_hi:[0,1]
	v_mov_b32_e32 v0, v41
	v_pk_add_f32 v[2:3], v[24:25], v[2:3] neg_lo:[0,1] neg_hi:[0,1]
	v_pk_add_f32 v[6:7], v[20:21], v[6:7]
	s_mov_b32 s4, s3
	s_mov_b32 s5, s2
	;; [unrolled: 1-line block ×4, first 2 shown]
	v_pk_fma_f32 v[40:41], v[66:67], v[68:69], v[0:1] op_sel:[1,0,0] op_sel_hi:[0,1,1]
	s_waitcnt vmcnt(4)
	v_mul_f32_e32 v0, v79, v83
	v_pk_add_f32 v[16:17], v[18:19], v[8:9]
	v_pk_add_f32 v[18:19], v[48:49], v[6:7]
	s_mov_b32 s0, 0xbf955555
	v_pk_mul_f32 v[10:11], v[10:11], s[2:3]
	v_pk_mul_f32 v[20:21], v[12:13], s[4:5]
	;; [unrolled: 1-line block ×4, first 2 shown]
	v_pk_fma_f32 v[38:39], v[66:67], v[68:69], v[38:39] neg_lo:[0,0,1] neg_hi:[0,0,1]
	v_fma_f32 v66, v78, v82, -v0
	s_waitcnt vmcnt(2)
	v_mov_b32_e32 v0, v77
	v_pk_mul_f32 v[44:45], v[74:75], v[76:77] op_sel:[1,0] op_sel_hi:[0,1]
	v_pk_fma_f32 v[6:7], v[6:7], s[0:1], v[18:19] op_sel_hi:[1,0,1]
	v_pk_fma_f32 v[12:13], v[12:13], s[4:5], v[10:11]
	v_pk_fma_f32 v[2:3], v[2:3], s[6:7], v[22:23]
	v_pk_add_f32 v[4:5], v[4:5], v[36:37] neg_lo:[0,1] neg_hi:[0,1]
	v_pk_add_f32 v[8:9], v[14:15], v[8:9] neg_lo:[0,1] neg_hi:[0,1]
	s_mov_b32 s0, 0x3f3bfb3b
	s_mov_b32 s4, 0xbf5ff5aa
	v_mov_b32_e32 v14, v20
	v_mov_b32_e32 v15, v11
	;; [unrolled: 1-line block ×6, first 2 shown]
	v_pk_mul_f32 v[42:43], v[74:75], v[0:1] op_sel:[1,0] op_sel_hi:[0,1]
	v_mov_b32_e32 v0, v45
	s_mov_b32 s2, 0xbee1c552
	v_pk_fma_f32 v[14:15], v[4:5], s[0:1], v[14:15] op_sel_hi:[1,0,1] neg_lo:[1,0,1] neg_hi:[1,0,1]
	v_pk_fma_f32 v[30:31], v[8:9], s[4:5], v[30:31] op_sel_hi:[1,0,1] neg_lo:[1,0,1] neg_hi:[1,0,1]
	v_pk_fma_f32 v[4:5], v[4:5], s[0:1], v[10:11] op_sel_hi:[1,0,1] neg_lo:[0,0,1] neg_hi:[0,0,1]
	v_pk_fma_f32 v[8:9], v[8:9], s[4:5], v[22:23] op_sel_hi:[1,0,1] neg_lo:[0,0,1] neg_hi:[0,0,1]
	v_pk_fma_f32 v[44:45], v[74:75], v[76:77], v[0:1] op_sel:[1,0,0] op_sel_hi:[0,1,1]
	s_waitcnt vmcnt(0)
	v_mov_b32_e32 v0, v85
	v_pk_mul_f32 v[52:53], v[80:81], v[84:85] op_sel:[1,0] op_sel_hi:[0,1]
	v_pk_add_f32 v[12:13], v[12:13], v[6:7]
	v_pk_add_f32 v[14:15], v[14:15], v[6:7]
	;; [unrolled: 1-line block ×3, first 2 shown]
	v_pk_fma_f32 v[6:7], v[16:17], s[2:3], v[8:9] op_sel_hi:[1,0,1]
	v_pk_mul_f32 v[46:47], v[80:81], v[0:1] op_sel:[1,0] op_sel_hi:[0,1]
	v_mov_b32_e32 v0, v53
	v_pk_fma_f32 v[2:3], v[16:17], s[2:3], v[2:3] op_sel_hi:[1,0,1]
	v_pk_add_f32 v[8:9], v[4:5], v[6:7] neg_lo:[0,1] neg_hi:[0,1]
	v_pk_add_f32 v[4:5], v[4:5], v[6:7]
	v_mul_f32_e32 v70, v70, v73
	v_mul_f32_e32 v67, v78, v83
	v_pk_fma_f32 v[52:53], v[80:81], v[84:85], v[0:1] op_sel:[1,0,0] op_sel_hi:[0,1,1]
	v_pk_add_f32 v[26:27], v[2:3], v[12:13]
	v_mul_f32_e32 v0, v18, v65
	v_pk_fma_f32 v[30:31], v[16:17], s[2:3], v[30:31] op_sel_hi:[1,0,1]
	v_mov_b32_e32 v10, v5
	v_mov_b32_e32 v11, v8
	v_fmac_f32_e32 v70, v71, v72
	v_fmac_f32_e32 v67, v79, v82
	v_pk_add_f32 v[2:3], v[12:13], v[2:3] neg_lo:[0,1] neg_hi:[0,1]
	v_fma_f32 v29, v19, v86, -v0
	v_mul_f32_e32 v0, v26, v87
	v_pk_add_f32 v[32:33], v[30:31], v[14:15]
	v_pk_mul_f32 v[10:11], v[10:11], v[40:41] op_sel_hi:[1,0]
	v_mul_f32_e32 v28, v19, v65
	v_fma_f32 v19, v3, v64, -v0
	v_pk_add_f32 v[14:15], v[14:15], v[30:31] neg_lo:[0,1] neg_hi:[0,1]
	v_mul_f32_e32 v0, v32, v70
	v_mov_b32_e32 v6, v8
	v_pk_fma_f32 v[16:17], v[8:9], v[38:39], v[10:11]
	v_mul_f32_e32 v8, v9, v67
	v_fma_f32 v35, v15, v88, -v0
	v_mov_b32_e32 v7, v5
	v_fmac_f32_e32 v8, v4, v66
	v_mul_f32_e32 v0, v4, v67
	v_mov_b32_e32 v4, v33
	v_mov_b32_e32 v5, v14
	v_pk_fma_f32 v[42:43], v[74:75], v[76:77], v[42:43] neg_lo:[0,0,1] neg_hi:[0,0,1]
	v_pk_mul_f32 v[4:5], v[4:5], v[44:45] op_sel_hi:[1,0]
	v_mov_b32_e32 v30, v14
	v_mul_f32_e32 v34, v15, v70
	v_pk_fma_f32 v[6:7], v[6:7], v[38:39], v[10:11] op_sel_hi:[1,0,1] neg_lo:[0,0,1] neg_hi:[0,0,1]
	v_pk_fma_f32 v[10:11], v[14:15], v[42:43], v[4:5]
	v_mov_b32_e32 v14, v27
	v_mov_b32_e32 v15, v2
	v_pk_fma_f32 v[46:47], v[80:81], v[84:85], v[46:47] neg_lo:[0,0,1] neg_hi:[0,0,1]
	v_pk_mul_f32 v[14:15], v[14:15], v[52:53] op_sel_hi:[1,0]
	v_mov_b32_e32 v12, v2
	v_fmac_f32_e32 v28, v18, v86
	v_mul_f32_e32 v18, v3, v87
	v_pk_fma_f32 v[2:3], v[2:3], v[46:47], v[14:15]
	s_movk_i32 s0, 0x90
	v_mad_u32_u24 v3, v51, s0, v1
	v_fma_f32 v9, v9, v66, -v0
	v_mad_u64_u32 v[0:1], s[0:1], s10, v3, v[50:51]
	v_mov_b32_e32 v13, v27
	v_mov_b32_e32 v1, 0
	v_pk_fma_f32 v[12:13], v[12:13], v[46:47], v[14:15] op_sel_hi:[1,0,1] neg_lo:[0,0,1] neg_hi:[0,0,1]
	v_lshl_add_u64 v[14:15], v[0:1], 3, s[8:9]
	v_add_u32_e32 v0, 24, v3
	global_store_dwordx2 v[14:15], v[28:29], off
	v_mad_u64_u32 v[14:15], s[0:1], s10, v0, v[50:51]
	v_mov_b32_e32 v15, v1
	v_fmac_f32_e32 v18, v26, v64
	v_lshl_add_u64 v[14:15], v[14:15], 3, s[8:9]
	v_add_u32_e32 v0, 48, v3
	global_store_dwordx2 v[14:15], v[18:19], off
	v_mad_u64_u32 v[14:15], s[0:1], s10, v0, v[50:51]
	v_mov_b32_e32 v15, v1
	v_fmac_f32_e32 v34, v32, v88
	v_lshl_add_u64 v[14:15], v[14:15], 3, s[8:9]
	v_add_u32_e32 v0, 0x48, v3
	global_store_dwordx2 v[14:15], v[34:35], off
	v_mad_u64_u32 v[14:15], s[0:1], s10, v0, v[50:51]
	v_add_u32_e32 v0, 0x60, v3
	v_mov_b32_e32 v17, v7
	v_mad_u64_u32 v[6:7], s[0:1], s10, v0, v[50:51]
	v_mov_b32_e32 v15, v1
	v_mov_b32_e32 v7, v1
	;; [unrolled: 1-line block ×3, first 2 shown]
	v_lshl_add_u64 v[14:15], v[14:15], 3, s[8:9]
	v_lshl_add_u64 v[6:7], v[6:7], 3, s[8:9]
	v_add_u32_e32 v0, 0x78, v3
	v_pk_fma_f32 v[4:5], v[30:31], v[42:43], v[4:5] op_sel_hi:[1,0,1] neg_lo:[0,0,1] neg_hi:[0,0,1]
	global_store_dwordx2 v[14:15], v[16:17], off
	global_store_dwordx2 v[6:7], v[8:9], off
	v_mad_u64_u32 v[6:7], s[0:1], s10, v0, v[50:51]
	v_add_u32_e32 v0, 0x90, v3
	v_mov_b32_e32 v11, v5
	v_mad_u64_u32 v[4:5], s[0:1], s10, v0, v[50:51]
	v_mov_b32_e32 v7, v1
	v_mov_b32_e32 v5, v1
	v_lshl_add_u64 v[6:7], v[6:7], 3, s[8:9]
	v_lshl_add_u64 v[0:1], v[4:5], 3, s[8:9]
	v_mov_b32_e32 v3, v13
	global_store_dwordx2 v[6:7], v[10:11], off
	global_store_dwordx2 v[0:1], v[2:3], off
.LBB0_34:
	s_endpgm
	.section	.rodata,"a",@progbits
	.p2align	6, 0x0
	.amdhsa_kernel fft_rtc_back_len168_factors_2_3_4_7_wgs_140_tpt_14_dim2_sp_ip_CI_sbcc_twdbase8_2step_dirReg_intrinsicReadWrite
		.amdhsa_group_segment_fixed_size 0
		.amdhsa_private_segment_fixed_size 0
		.amdhsa_kernarg_size 88
		.amdhsa_user_sgpr_count 2
		.amdhsa_user_sgpr_dispatch_ptr 0
		.amdhsa_user_sgpr_queue_ptr 0
		.amdhsa_user_sgpr_kernarg_segment_ptr 1
		.amdhsa_user_sgpr_dispatch_id 0
		.amdhsa_user_sgpr_kernarg_preload_length 0
		.amdhsa_user_sgpr_kernarg_preload_offset 0
		.amdhsa_user_sgpr_private_segment_size 0
		.amdhsa_uses_dynamic_stack 0
		.amdhsa_enable_private_segment 0
		.amdhsa_system_sgpr_workgroup_id_x 1
		.amdhsa_system_sgpr_workgroup_id_y 0
		.amdhsa_system_sgpr_workgroup_id_z 0
		.amdhsa_system_sgpr_workgroup_info 0
		.amdhsa_system_vgpr_workitem_id 0
		.amdhsa_next_free_vgpr 132
		.amdhsa_next_free_sgpr 21
		.amdhsa_accum_offset 132
		.amdhsa_reserve_vcc 1
		.amdhsa_float_round_mode_32 0
		.amdhsa_float_round_mode_16_64 0
		.amdhsa_float_denorm_mode_32 3
		.amdhsa_float_denorm_mode_16_64 3
		.amdhsa_dx10_clamp 1
		.amdhsa_ieee_mode 1
		.amdhsa_fp16_overflow 0
		.amdhsa_tg_split 0
		.amdhsa_exception_fp_ieee_invalid_op 0
		.amdhsa_exception_fp_denorm_src 0
		.amdhsa_exception_fp_ieee_div_zero 0
		.amdhsa_exception_fp_ieee_overflow 0
		.amdhsa_exception_fp_ieee_underflow 0
		.amdhsa_exception_fp_ieee_inexact 0
		.amdhsa_exception_int_div_zero 0
	.end_amdhsa_kernel
	.text
.Lfunc_end0:
	.size	fft_rtc_back_len168_factors_2_3_4_7_wgs_140_tpt_14_dim2_sp_ip_CI_sbcc_twdbase8_2step_dirReg_intrinsicReadWrite, .Lfunc_end0-fft_rtc_back_len168_factors_2_3_4_7_wgs_140_tpt_14_dim2_sp_ip_CI_sbcc_twdbase8_2step_dirReg_intrinsicReadWrite
                                        ; -- End function
	.section	.AMDGPU.csdata,"",@progbits
; Kernel info:
; codeLenInByte = 7512
; NumSgprs: 27
; NumVgprs: 132
; NumAgprs: 0
; TotalNumVgprs: 132
; ScratchSize: 0
; MemoryBound: 0
; FloatMode: 240
; IeeeMode: 1
; LDSByteSize: 0 bytes/workgroup (compile time only)
; SGPRBlocks: 3
; VGPRBlocks: 16
; NumSGPRsForWavesPerEU: 27
; NumVGPRsForWavesPerEU: 132
; AccumOffset: 132
; Occupancy: 3
; WaveLimiterHint : 1
; COMPUTE_PGM_RSRC2:SCRATCH_EN: 0
; COMPUTE_PGM_RSRC2:USER_SGPR: 2
; COMPUTE_PGM_RSRC2:TRAP_HANDLER: 0
; COMPUTE_PGM_RSRC2:TGID_X_EN: 1
; COMPUTE_PGM_RSRC2:TGID_Y_EN: 0
; COMPUTE_PGM_RSRC2:TGID_Z_EN: 0
; COMPUTE_PGM_RSRC2:TIDIG_COMP_CNT: 0
; COMPUTE_PGM_RSRC3_GFX90A:ACCUM_OFFSET: 32
; COMPUTE_PGM_RSRC3_GFX90A:TG_SPLIT: 0
	.text
	.p2alignl 6, 3212836864
	.fill 256, 4, 3212836864
	.type	__hip_cuid_fd0047b260cf761,@object ; @__hip_cuid_fd0047b260cf761
	.section	.bss,"aw",@nobits
	.globl	__hip_cuid_fd0047b260cf761
__hip_cuid_fd0047b260cf761:
	.byte	0                               ; 0x0
	.size	__hip_cuid_fd0047b260cf761, 1

	.ident	"AMD clang version 19.0.0git (https://github.com/RadeonOpenCompute/llvm-project roc-6.4.0 25133 c7fe45cf4b819c5991fe208aaa96edf142730f1d)"
	.section	".note.GNU-stack","",@progbits
	.addrsig
	.addrsig_sym __hip_cuid_fd0047b260cf761
	.amdgpu_metadata
---
amdhsa.kernels:
  - .agpr_count:     0
    .args:
      - .actual_access:  read_only
        .address_space:  global
        .offset:         0
        .size:           8
        .value_kind:     global_buffer
      - .address_space:  global
        .offset:         8
        .size:           8
        .value_kind:     global_buffer
      - .actual_access:  read_only
        .address_space:  global
        .offset:         16
        .size:           8
        .value_kind:     global_buffer
      - .actual_access:  read_only
        .address_space:  global
        .offset:         24
        .size:           8
        .value_kind:     global_buffer
      - .offset:         32
        .size:           8
        .value_kind:     by_value
      - .actual_access:  read_only
        .address_space:  global
        .offset:         40
        .size:           8
        .value_kind:     global_buffer
      - .actual_access:  read_only
        .address_space:  global
        .offset:         48
        .size:           8
        .value_kind:     global_buffer
      - .offset:         56
        .size:           4
        .value_kind:     by_value
      - .actual_access:  read_only
        .address_space:  global
        .offset:         64
        .size:           8
        .value_kind:     global_buffer
      - .actual_access:  read_only
        .address_space:  global
        .offset:         72
        .size:           8
        .value_kind:     global_buffer
      - .address_space:  global
        .offset:         80
        .size:           8
        .value_kind:     global_buffer
    .group_segment_fixed_size: 0
    .kernarg_segment_align: 8
    .kernarg_segment_size: 88
    .language:       OpenCL C
    .language_version:
      - 2
      - 0
    .max_flat_workgroup_size: 140
    .name:           fft_rtc_back_len168_factors_2_3_4_7_wgs_140_tpt_14_dim2_sp_ip_CI_sbcc_twdbase8_2step_dirReg_intrinsicReadWrite
    .private_segment_fixed_size: 0
    .sgpr_count:     27
    .sgpr_spill_count: 0
    .symbol:         fft_rtc_back_len168_factors_2_3_4_7_wgs_140_tpt_14_dim2_sp_ip_CI_sbcc_twdbase8_2step_dirReg_intrinsicReadWrite.kd
    .uniform_work_group_size: 1
    .uses_dynamic_stack: false
    .vgpr_count:     132
    .vgpr_spill_count: 0
    .wavefront_size: 64
amdhsa.target:   amdgcn-amd-amdhsa--gfx950
amdhsa.version:
  - 1
  - 2
...

	.end_amdgpu_metadata
